;; amdgpu-corpus repo=ROCm/rocFFT kind=compiled arch=gfx906 opt=O3
	.text
	.amdgcn_target "amdgcn-amd-amdhsa--gfx906"
	.amdhsa_code_object_version 6
	.protected	fft_rtc_fwd_len780_factors_2_3_13_5_2_wgs_234_tpt_78_halfLds_half_op_CI_CI_unitstride_sbrr_dirReg ; -- Begin function fft_rtc_fwd_len780_factors_2_3_13_5_2_wgs_234_tpt_78_halfLds_half_op_CI_CI_unitstride_sbrr_dirReg
	.globl	fft_rtc_fwd_len780_factors_2_3_13_5_2_wgs_234_tpt_78_halfLds_half_op_CI_CI_unitstride_sbrr_dirReg
	.p2align	8
	.type	fft_rtc_fwd_len780_factors_2_3_13_5_2_wgs_234_tpt_78_halfLds_half_op_CI_CI_unitstride_sbrr_dirReg,@function
fft_rtc_fwd_len780_factors_2_3_13_5_2_wgs_234_tpt_78_halfLds_half_op_CI_CI_unitstride_sbrr_dirReg: ; @fft_rtc_fwd_len780_factors_2_3_13_5_2_wgs_234_tpt_78_halfLds_half_op_CI_CI_unitstride_sbrr_dirReg
; %bb.0:
	v_mul_u32_u24_e32 v1, 0x349, v0
	s_load_dwordx4 s[8:11], s[4:5], 0x58
	s_load_dwordx4 s[12:15], s[4:5], 0x0
	;; [unrolled: 1-line block ×3, first 2 shown]
	v_lshrrev_b32_e32 v1, 16, v1
	v_mad_u64_u32 v[7:8], s[0:1], s6, 3, v[1:2]
	v_mov_b32_e32 v3, 0
	s_waitcnt lgkmcnt(0)
	v_cmp_lt_u64_e64 s[0:1], s[14:15], 2
	v_mov_b32_e32 v9, 0
	v_mov_b32_e32 v8, v3
	;; [unrolled: 1-line block ×5, first 2 shown]
	s_and_b64 vcc, exec, s[0:1]
	v_mov_b32_e32 v2, v10
	v_mov_b32_e32 v6, v8
	s_cbranch_vccnz .LBB0_8
; %bb.1:
	s_load_dwordx2 s[0:1], s[4:5], 0x10
	s_add_u32 s2, s18, 8
	s_addc_u32 s3, s19, 0
	s_add_u32 s6, s16, 8
	s_addc_u32 s7, s17, 0
	v_mov_b32_e32 v9, 0
	s_waitcnt lgkmcnt(0)
	s_add_u32 s20, s0, 8
	v_mov_b32_e32 v10, 0
	v_mov_b32_e32 v1, v9
	;; [unrolled: 1-line block ×3, first 2 shown]
	s_addc_u32 s21, s1, 0
	s_mov_b64 s[22:23], 1
	v_mov_b32_e32 v2, v10
	v_mov_b32_e32 v11, v7
.LBB0_2:                                ; =>This Inner Loop Header: Depth=1
	s_load_dwordx2 s[24:25], s[20:21], 0x0
                                        ; implicit-def: $vgpr5_vgpr6
	s_waitcnt lgkmcnt(0)
	v_or_b32_e32 v4, s25, v12
	v_cmp_ne_u64_e32 vcc, 0, v[3:4]
	s_and_saveexec_b64 s[0:1], vcc
	s_xor_b64 s[26:27], exec, s[0:1]
	s_cbranch_execz .LBB0_4
; %bb.3:                                ;   in Loop: Header=BB0_2 Depth=1
	v_cvt_f32_u32_e32 v4, s24
	v_cvt_f32_u32_e32 v5, s25
	s_sub_u32 s0, 0, s24
	s_subb_u32 s1, 0, s25
	v_mac_f32_e32 v4, 0x4f800000, v5
	v_rcp_f32_e32 v4, v4
	v_mul_f32_e32 v4, 0x5f7ffffc, v4
	v_mul_f32_e32 v5, 0x2f800000, v4
	v_trunc_f32_e32 v5, v5
	v_mac_f32_e32 v4, 0xcf800000, v5
	v_cvt_u32_f32_e32 v5, v5
	v_cvt_u32_f32_e32 v4, v4
	v_mul_lo_u32 v6, s0, v5
	v_mul_hi_u32 v8, s0, v4
	v_mul_lo_u32 v14, s1, v4
	v_mul_lo_u32 v13, s0, v4
	v_add_u32_e32 v6, v8, v6
	v_add_u32_e32 v6, v6, v14
	v_mul_hi_u32 v8, v4, v13
	v_mul_lo_u32 v14, v4, v6
	v_mul_hi_u32 v16, v4, v6
	v_mul_hi_u32 v15, v5, v13
	v_mul_lo_u32 v13, v5, v13
	v_mul_hi_u32 v17, v5, v6
	v_add_co_u32_e32 v8, vcc, v8, v14
	v_addc_co_u32_e32 v14, vcc, 0, v16, vcc
	v_mul_lo_u32 v6, v5, v6
	v_add_co_u32_e32 v8, vcc, v8, v13
	v_addc_co_u32_e32 v8, vcc, v14, v15, vcc
	v_addc_co_u32_e32 v13, vcc, 0, v17, vcc
	v_add_co_u32_e32 v6, vcc, v8, v6
	v_addc_co_u32_e32 v8, vcc, 0, v13, vcc
	v_add_co_u32_e32 v4, vcc, v4, v6
	v_addc_co_u32_e32 v5, vcc, v5, v8, vcc
	v_mul_lo_u32 v6, s0, v5
	v_mul_hi_u32 v8, s0, v4
	v_mul_lo_u32 v13, s1, v4
	v_mul_lo_u32 v14, s0, v4
	v_add_u32_e32 v6, v8, v6
	v_add_u32_e32 v6, v6, v13
	v_mul_lo_u32 v15, v4, v6
	v_mul_hi_u32 v16, v4, v14
	v_mul_hi_u32 v17, v4, v6
	;; [unrolled: 1-line block ×3, first 2 shown]
	v_mul_lo_u32 v14, v5, v14
	v_mul_hi_u32 v8, v5, v6
	v_add_co_u32_e32 v15, vcc, v16, v15
	v_addc_co_u32_e32 v16, vcc, 0, v17, vcc
	v_mul_lo_u32 v6, v5, v6
	v_add_co_u32_e32 v14, vcc, v15, v14
	v_addc_co_u32_e32 v13, vcc, v16, v13, vcc
	v_addc_co_u32_e32 v8, vcc, 0, v8, vcc
	v_add_co_u32_e32 v6, vcc, v13, v6
	v_addc_co_u32_e32 v8, vcc, 0, v8, vcc
	v_add_co_u32_e32 v6, vcc, v4, v6
	v_addc_co_u32_e32 v8, vcc, v5, v8, vcc
	v_mad_u64_u32 v[4:5], s[0:1], v11, v8, 0
	v_mul_hi_u32 v13, v11, v6
	v_add_co_u32_e32 v15, vcc, v13, v4
	v_addc_co_u32_e32 v16, vcc, 0, v5, vcc
	v_mad_u64_u32 v[4:5], s[0:1], v12, v6, 0
	v_mad_u64_u32 v[13:14], s[0:1], v12, v8, 0
	v_add_co_u32_e32 v4, vcc, v15, v4
	v_addc_co_u32_e32 v4, vcc, v16, v5, vcc
	v_addc_co_u32_e32 v5, vcc, 0, v14, vcc
	v_add_co_u32_e32 v8, vcc, v4, v13
	v_addc_co_u32_e32 v6, vcc, 0, v5, vcc
	v_mul_lo_u32 v13, s25, v8
	v_mul_lo_u32 v14, s24, v6
	v_mad_u64_u32 v[4:5], s[0:1], s24, v8, 0
	v_add3_u32 v5, v5, v14, v13
	v_sub_u32_e32 v13, v12, v5
	v_mov_b32_e32 v14, s25
	v_sub_co_u32_e32 v4, vcc, v11, v4
	v_subb_co_u32_e64 v13, s[0:1], v13, v14, vcc
	v_subrev_co_u32_e64 v14, s[0:1], s24, v4
	v_subbrev_co_u32_e64 v13, s[0:1], 0, v13, s[0:1]
	v_cmp_le_u32_e64 s[0:1], s25, v13
	v_cndmask_b32_e64 v15, 0, -1, s[0:1]
	v_cmp_le_u32_e64 s[0:1], s24, v14
	v_cndmask_b32_e64 v14, 0, -1, s[0:1]
	v_cmp_eq_u32_e64 s[0:1], s25, v13
	v_cndmask_b32_e64 v13, v15, v14, s[0:1]
	v_add_co_u32_e64 v14, s[0:1], 2, v8
	v_addc_co_u32_e64 v15, s[0:1], 0, v6, s[0:1]
	v_add_co_u32_e64 v16, s[0:1], 1, v8
	v_addc_co_u32_e64 v17, s[0:1], 0, v6, s[0:1]
	v_subb_co_u32_e32 v5, vcc, v12, v5, vcc
	v_cmp_ne_u32_e64 s[0:1], 0, v13
	v_cmp_le_u32_e32 vcc, s25, v5
	v_cndmask_b32_e64 v13, v17, v15, s[0:1]
	v_cndmask_b32_e64 v15, 0, -1, vcc
	v_cmp_le_u32_e32 vcc, s24, v4
	v_cndmask_b32_e64 v4, 0, -1, vcc
	v_cmp_eq_u32_e32 vcc, s25, v5
	v_cndmask_b32_e32 v4, v15, v4, vcc
	v_cmp_ne_u32_e32 vcc, 0, v4
	v_cndmask_b32_e64 v4, v16, v14, s[0:1]
	v_cndmask_b32_e32 v6, v6, v13, vcc
	v_cndmask_b32_e32 v5, v8, v4, vcc
.LBB0_4:                                ;   in Loop: Header=BB0_2 Depth=1
	s_andn2_saveexec_b64 s[0:1], s[26:27]
	s_cbranch_execz .LBB0_6
; %bb.5:                                ;   in Loop: Header=BB0_2 Depth=1
	v_cvt_f32_u32_e32 v4, s24
	s_sub_i32 s26, 0, s24
	v_rcp_iflag_f32_e32 v4, v4
	v_mul_f32_e32 v4, 0x4f7ffffe, v4
	v_cvt_u32_f32_e32 v4, v4
	v_mul_lo_u32 v5, s26, v4
	v_mul_hi_u32 v5, v4, v5
	v_add_u32_e32 v4, v4, v5
	v_mul_hi_u32 v4, v11, v4
	v_mul_lo_u32 v5, v4, s24
	v_add_u32_e32 v6, 1, v4
	v_sub_u32_e32 v5, v11, v5
	v_subrev_u32_e32 v8, s24, v5
	v_cmp_le_u32_e32 vcc, s24, v5
	v_cndmask_b32_e32 v5, v5, v8, vcc
	v_cndmask_b32_e32 v4, v4, v6, vcc
	v_add_u32_e32 v6, 1, v4
	v_cmp_le_u32_e32 vcc, s24, v5
	v_cndmask_b32_e32 v5, v4, v6, vcc
	v_mov_b32_e32 v6, v3
.LBB0_6:                                ;   in Loop: Header=BB0_2 Depth=1
	s_or_b64 exec, exec, s[0:1]
	v_mul_lo_u32 v4, v6, s24
	v_mul_lo_u32 v8, v5, s25
	v_mad_u64_u32 v[13:14], s[0:1], v5, s24, 0
	s_load_dwordx2 s[0:1], s[6:7], 0x0
	s_load_dwordx2 s[24:25], s[2:3], 0x0
	v_add3_u32 v4, v14, v8, v4
	v_sub_co_u32_e32 v8, vcc, v11, v13
	v_subb_co_u32_e32 v4, vcc, v12, v4, vcc
	s_waitcnt lgkmcnt(0)
	v_mul_lo_u32 v11, s0, v4
	v_mul_lo_u32 v12, s1, v8
	v_mad_u64_u32 v[9:10], s[0:1], s0, v8, v[9:10]
	s_add_u32 s22, s22, 1
	s_addc_u32 s23, s23, 0
	s_add_u32 s2, s2, 8
	v_mul_lo_u32 v4, s24, v4
	v_mul_lo_u32 v13, s25, v8
	v_mad_u64_u32 v[1:2], s[0:1], s24, v8, v[1:2]
	v_add3_u32 v10, v12, v10, v11
	s_addc_u32 s3, s3, 0
	v_mov_b32_e32 v11, s14
	s_add_u32 s6, s6, 8
	v_mov_b32_e32 v12, s15
	s_addc_u32 s7, s7, 0
	v_cmp_ge_u64_e32 vcc, s[22:23], v[11:12]
	s_add_u32 s20, s20, 8
	v_add3_u32 v2, v13, v2, v4
	s_addc_u32 s21, s21, 0
	s_cbranch_vccnz .LBB0_8
; %bb.7:                                ;   in Loop: Header=BB0_2 Depth=1
	v_mov_b32_e32 v12, v6
	v_mov_b32_e32 v11, v5
	s_branch .LBB0_2
.LBB0_8:
	s_load_dwordx2 s[0:1], s[4:5], 0x28
	s_lshl_b64 s[6:7], s[14:15], 3
	s_add_u32 s2, s18, s6
	s_addc_u32 s3, s19, s7
                                        ; implicit-def: $sgpr14
                                        ; implicit-def: $vgpr3
	s_waitcnt lgkmcnt(0)
	v_cmp_gt_u64_e32 vcc, s[0:1], v[5:6]
	v_cmp_le_u64_e64 s[0:1], s[0:1], v[5:6]
	s_and_saveexec_b64 s[4:5], s[0:1]
	s_xor_b64 s[0:1], exec, s[4:5]
; %bb.9:
	s_mov_b32 s4, 0x3483484
	v_mul_hi_u32 v3, v0, s4
	s_mov_b32 s14, 0
                                        ; implicit-def: $vgpr9_vgpr10
	v_mul_u32_u24_e32 v3, 0x4e, v3
	v_sub_u32_e32 v3, v0, v3
                                        ; implicit-def: $vgpr0
; %bb.10:
	s_or_saveexec_b64 s[4:5], s[0:1]
	v_mov_b32_e32 v8, s14
	v_mov_b32_e32 v13, s14
	;; [unrolled: 1-line block ×5, first 2 shown]
                                        ; implicit-def: $vgpr28
                                        ; implicit-def: $vgpr4
                                        ; implicit-def: $vgpr29
                                        ; implicit-def: $vgpr11
                                        ; implicit-def: $vgpr30
                                        ; implicit-def: $vgpr15
                                        ; implicit-def: $vgpr31
                                        ; implicit-def: $vgpr16
                                        ; implicit-def: $vgpr32
                                        ; implicit-def: $vgpr17
	s_xor_b64 exec, exec, s[4:5]
	s_cbranch_execz .LBB0_12
; %bb.11:
	s_add_u32 s0, s16, s6
	s_addc_u32 s1, s17, s7
	s_load_dwordx2 s[0:1], s[0:1], 0x0
	s_mov_b32 s6, 0x3483484
	v_mul_hi_u32 v3, v0, s6
	s_waitcnt lgkmcnt(0)
	v_mul_lo_u32 v4, s1, v5
	v_mul_lo_u32 v8, s0, v6
	v_mad_u64_u32 v[11:12], s[0:1], s0, v5, 0
	v_mul_u32_u24_e32 v3, 0x4e, v3
	v_sub_u32_e32 v3, v0, v3
	v_add3_u32 v12, v12, v8, v4
	v_lshlrev_b64 v[11:12], 2, v[11:12]
	v_mov_b32_e32 v0, s9
	v_add_co_u32_e64 v4, s[0:1], s8, v11
	v_lshlrev_b64 v[8:9], 2, v[9:10]
	v_addc_co_u32_e64 v0, s[0:1], v0, v12, s[0:1]
	v_add_co_u32_e64 v4, s[0:1], v4, v8
	v_addc_co_u32_e64 v0, s[0:1], v0, v9, s[0:1]
	v_lshlrev_b32_e32 v8, 2, v3
	v_add_co_u32_e64 v9, s[0:1], v4, v8
	v_addc_co_u32_e64 v10, s[0:1], 0, v0, s[0:1]
	global_load_dword v4, v[9:10], off offset:1560
	global_load_dword v11, v[9:10], off offset:1872
	;; [unrolled: 1-line block ×3, first 2 shown]
	global_load_dword v8, v[9:10], off
	global_load_dword v13, v[9:10], off offset:312
	global_load_dword v12, v[9:10], off offset:624
	;; [unrolled: 1-line block ×6, first 2 shown]
	s_waitcnt vmcnt(9)
	v_lshrrev_b32_e32 v28, 16, v4
	s_waitcnt vmcnt(8)
	v_lshrrev_b32_e32 v29, 16, v11
	;; [unrolled: 2-line block ×5, first 2 shown]
.LBB0_12:
	s_or_b64 exec, exec, s[4:5]
	s_mov_b32 s0, 0xaaaaaaab
	v_mul_hi_u32 v0, v7, s0
	v_sub_f16_e32 v9, v8, v4
	v_sub_f16_e32 v15, v12, v15
	v_add_u32_e32 v26, 0x4e, v3
	v_lshrrev_b32_e32 v0, 1, v0
	v_lshl_add_u32 v0, v0, 1, v0
	v_sub_u32_e32 v0, v7, v0
	v_mul_u32_u24_e32 v0, 0x30c, v0
	v_sub_f16_e32 v7, v13, v11
	v_lshlrev_b32_e32 v4, 1, v0
	v_fma_f16 v18, v13, 2.0, -v7
	v_add_u32_e32 v0, 0, v4
	v_fma_f16 v10, v8, 2.0, -v9
	v_fma_f16 v19, v12, 2.0, -v15
	v_sub_f16_e32 v16, v14, v16
	v_pack_b32_f16 v7, v18, v7
	v_lshl_add_u32 v35, v26, 2, v0
	v_add_u32_e32 v24, 0x9c, v3
	v_fma_f16 v20, v14, 2.0, -v16
	s_waitcnt vmcnt(0)
	v_sub_f16_e32 v11, v33, v17
	v_pack_b32_f16 v9, v10, v9
	ds_write_b32 v35, v7
	v_pack_b32_f16 v7, v19, v15
	v_lshl_add_u32 v36, v24, 2, v0
	v_add_u32_e32 v10, 0xea, v3
	v_fma_f16 v17, v33, 2.0, -v11
	v_lshlrev_b32_e32 v21, 1, v3
	ds_write_b32 v36, v7
	v_pack_b32_f16 v7, v20, v16
	v_lshl_add_u32 v37, v10, 2, v0
	v_lshl_add_u32 v34, v3, 2, v0
	ds_write_b32 v37, v7
	v_pack_b32_f16 v7, v17, v11
	v_add_u32_e32 v0, v0, v21
	s_load_dwordx2 s[4:5], s[2:3], 0x0
	ds_write_b32 v34, v9
	ds_write_b32 v34, v7 offset:1248
	s_waitcnt lgkmcnt(0)
	s_barrier
	v_add3_u32 v9, 0, v21, v4
	ds_read_u16 v15, v0
	ds_read_u16 v16, v9 offset:156
	ds_read_u16 v18, v9 offset:1196
	;; [unrolled: 1-line block ×8, first 2 shown]
	v_cmp_gt_u32_e64 s[2:3], 26, v3
	v_add_u32_e32 v38, 0x4e0, v34
                                        ; implicit-def: $vgpr23
                                        ; implicit-def: $vgpr25
	s_and_saveexec_b64 s[0:1], s[2:3]
	s_cbranch_execz .LBB0_14
; %bb.13:
	ds_read_u16 v11, v9 offset:468
	ds_read_u16 v25, v9 offset:988
	;; [unrolled: 1-line block ×3, first 2 shown]
.LBB0_14:
	s_or_b64 exec, exec, s[0:1]
	v_lshrrev_b32_e32 v7, 16, v8
	v_sub_f16_e32 v8, v7, v28
	v_fma_f16 v28, v7, 2.0, -v8
	v_lshrrev_b32_e32 v7, 16, v13
	v_sub_f16_e32 v13, v7, v29
	v_fma_f16 v29, v7, 2.0, -v13
	v_lshrrev_b32_e32 v7, 16, v12
	v_sub_f16_e32 v12, v7, v30
	v_fma_f16 v30, v7, 2.0, -v12
	v_lshrrev_b32_e32 v7, 16, v14
	v_pack_b32_f16 v8, v28, v8
	v_sub_f16_e32 v14, v7, v31
	v_lshrrev_b32_e32 v33, 16, v33
	s_waitcnt lgkmcnt(0)
	s_barrier
	ds_write_b32 v34, v8
	v_pack_b32_f16 v8, v29, v13
	v_fma_f16 v31, v7, 2.0, -v14
	v_sub_f16_e32 v7, v33, v32
	ds_write_b32 v35, v8
	v_pack_b32_f16 v8, v30, v12
	v_fma_f16 v32, v33, 2.0, -v7
	ds_write_b32 v36, v8
	v_pack_b32_f16 v8, v31, v14
	ds_write_b32 v37, v8
	v_pack_b32_f16 v8, v32, v7
	ds_write_b32 v38, v8
	s_waitcnt lgkmcnt(0)
	s_barrier
	ds_read_u16 v14, v0
	ds_read_u16 v12, v9 offset:156
	ds_read_u16 v29, v9 offset:676
	;; [unrolled: 1-line block ×8, first 2 shown]
                                        ; implicit-def: $vgpr32
                                        ; implicit-def: $vgpr35
	s_and_saveexec_b64 s[0:1], s[2:3]
	s_cbranch_execz .LBB0_16
; %bb.15:
	ds_read_u16 v7, v9 offset:468
	ds_read_u16 v35, v9 offset:988
	;; [unrolled: 1-line block ×3, first 2 shown]
.LBB0_16:
	s_or_b64 exec, exec, s[0:1]
	v_and_b32_e32 v8, 1, v3
	v_lshlrev_b32_e32 v34, 3, v8
	global_load_dwordx2 v[48:49], v34, s[12:13]
	v_lshrrev_b32_e32 v34, 1, v3
	v_lshrrev_b32_e32 v26, 1, v26
	;; [unrolled: 1-line block ×3, first 2 shown]
	v_mul_u32_u24_e32 v34, 6, v34
	v_mul_u32_u24_e32 v26, 6, v26
	;; [unrolled: 1-line block ×3, first 2 shown]
	v_or_b32_e32 v34, v34, v8
	v_or_b32_e32 v26, v26, v8
	;; [unrolled: 1-line block ×3, first 2 shown]
	v_lshlrev_b32_e32 v34, 1, v34
	v_lshlrev_b32_e32 v26, 1, v26
	;; [unrolled: 1-line block ×3, first 2 shown]
	v_add3_u32 v37, 0, v34, v4
	v_add3_u32 v34, 0, v26, v4
	s_movk_i32 s0, 0x3aee
	s_mov_b32 s1, 0xbaee
	s_waitcnt vmcnt(0) lgkmcnt(0)
	s_barrier
	v_mul_f16_sdwa v24, v36, v48 dst_sel:DWORD dst_unused:UNUSED_PAD src0_sel:DWORD src1_sel:WORD_1
	v_mul_f16_sdwa v38, v27, v48 dst_sel:DWORD dst_unused:UNUSED_PAD src0_sel:DWORD src1_sel:WORD_1
	;; [unrolled: 1-line block ×16, first 2 shown]
	v_fma_f16 v26, v27, v48, -v24
	v_fma_f16 v46, v36, v48, v38
	v_fma_f16 v45, v21, v49, -v39
	v_fma_f16 v47, v33, v49, v40
	v_fma_f16 v41, v22, v48, -v41
	v_fma_f16 v43, v18, v49, -v43
	;; [unrolled: 1-line block ×5, first 2 shown]
	v_fma_f16 v38, v35, v48, v57
	v_fma_f16 v35, v23, v49, -v58
	v_fma_f16 v44, v29, v48, v42
	v_fma_f16 v28, v28, v49, v51
	;; [unrolled: 1-line block ×5, first 2 shown]
	v_add_f16_e32 v18, v26, v45
	v_add_f16_e32 v20, v41, v43
	v_add_f16_e32 v21, v33, v39
	v_add_f16_e32 v22, v36, v35
	v_sub_f16_e32 v19, v46, v47
	v_sub_f16_e32 v23, v44, v28
	;; [unrolled: 1-line block ×4, first 2 shown]
	v_add_f16_e32 v27, v15, v26
	v_add_f16_e32 v29, v16, v41
	v_add_f16_e32 v30, v17, v33
	v_add_f16_e32 v32, v11, v36
	v_fma_f16 v18, v18, -0.5, v15
	v_fma_f16 v48, v20, -0.5, v16
	;; [unrolled: 1-line block ×4, first 2 shown]
	v_add_f16_e32 v11, v27, v45
	v_add_f16_e32 v16, v29, v43
	;; [unrolled: 1-line block ×4, first 2 shown]
	v_fma_f16 v20, v19, s0, v18
	v_fma_f16 v21, v19, s1, v18
	v_fma_f16 v17, v23, s0, v48
	v_fma_f16 v23, v23, s1, v48
	v_fma_f16 v18, v24, s0, v49
	v_fma_f16 v19, v24, s1, v49
	v_fma_f16 v27, v25, s0, v51
	v_fma_f16 v24, v25, s1, v51
	v_add3_u32 v49, 0, v50, v4
	v_lshrrev_b32_e32 v48, 1, v10
	ds_write_b16 v37, v11
	ds_write_b16 v37, v20 offset:4
	ds_write_b16 v37, v21 offset:8
	ds_write_b16 v34, v16
	ds_write_b16 v34, v17 offset:4
	ds_write_b16 v34, v23 offset:8
	;; [unrolled: 3-line block ×3, first 2 shown]
	s_and_saveexec_b64 s[0:1], s[2:3]
	s_cbranch_execz .LBB0_18
; %bb.17:
	v_mul_u32_u24_e32 v10, 6, v48
	v_or_b32_e32 v10, v10, v8
	v_lshlrev_b32_e32 v10, 1, v10
	v_add3_u32 v10, 0, v10, v4
	ds_write_b16 v10, v22
	ds_write_b16 v10, v27 offset:4
	ds_write_b16 v10, v24 offset:8
.LBB0_18:
	s_or_b64 exec, exec, s[0:1]
	v_cmp_gt_u32_e64 s[0:1], 60, v3
	s_waitcnt lgkmcnt(0)
	s_barrier
	s_waitcnt lgkmcnt(0)
                                        ; implicit-def: $vgpr29
	s_and_saveexec_b64 s[6:7], s[0:1]
	s_cbranch_execz .LBB0_20
; %bb.19:
	ds_read_u16 v11, v0
	ds_read_u16 v20, v9 offset:120
	ds_read_u16 v21, v9 offset:240
	;; [unrolled: 1-line block ×12, first 2 shown]
.LBB0_20:
	s_or_b64 exec, exec, s[6:7]
	v_add_f16_e32 v25, v46, v47
	v_fma_f16 v25, v25, -0.5, v14
	v_sub_f16_e32 v26, v26, v45
	s_mov_b32 s6, 0xbaee
	s_movk_i32 s7, 0x3aee
	v_add_f16_e32 v10, v14, v46
	v_fma_f16 v14, v26, s6, v25
	v_fma_f16 v25, v26, s7, v25
	v_add_f16_e32 v26, v12, v44
	v_add_f16_e32 v26, v26, v28
	v_add_f16_e32 v28, v44, v28
	v_fma_f16 v12, v28, -0.5, v12
	v_sub_f16_e32 v30, v41, v43
	v_fma_f16 v28, v30, s6, v12
	v_fma_f16 v12, v30, s7, v12
	v_add_f16_e32 v30, v13, v42
	v_add_f16_e32 v30, v30, v31
	v_add_f16_e32 v31, v42, v31
	v_fma_f16 v13, v31, -0.5, v13
	v_sub_f16_e32 v31, v33, v39
	;; [unrolled: 7-line block ×3, first 2 shown]
	v_add_f16_e32 v10, v10, v47
	v_fma_f16 v36, v13, s6, v7
	v_fma_f16 v35, v13, s7, v7
	s_waitcnt lgkmcnt(0)
	s_barrier
	ds_write_b16 v37, v10
	ds_write_b16 v37, v14 offset:4
	ds_write_b16 v37, v25 offset:8
	ds_write_b16 v34, v26
	ds_write_b16 v34, v28 offset:4
	ds_write_b16 v34, v12 offset:8
	;; [unrolled: 3-line block ×3, first 2 shown]
	s_and_saveexec_b64 s[6:7], s[2:3]
	s_cbranch_execz .LBB0_22
; %bb.21:
	v_mul_u32_u24_e32 v7, 6, v48
	v_or_b32_e32 v7, v7, v8
	v_lshlrev_b32_e32 v7, 1, v7
	v_add3_u32 v7, 0, v7, v4
	ds_write_b16 v7, v33
	ds_write_b16 v7, v36 offset:4
	ds_write_b16 v7, v35 offset:8
.LBB0_22:
	s_or_b64 exec, exec, s[6:7]
	s_waitcnt lgkmcnt(0)
	s_barrier
	s_waitcnt lgkmcnt(0)
                                        ; implicit-def: $vgpr38
	s_and_saveexec_b64 s[2:3], s[0:1]
	s_cbranch_execz .LBB0_24
; %bb.23:
	ds_read_u16 v10, v0
	ds_read_u16 v14, v9 offset:120
	ds_read_u16 v25, v9 offset:240
	ds_read_u16 v26, v9 offset:360
	ds_read_u16 v28, v9 offset:480
	ds_read_u16 v12, v9 offset:600
	ds_read_u16 v30, v9 offset:720
	ds_read_u16 v32, v9 offset:840
	ds_read_u16 v31, v9 offset:960
	ds_read_u16 v33, v9 offset:1080
	ds_read_u16 v36, v9 offset:1200
	ds_read_u16 v35, v9 offset:1320
	ds_read_u16 v38, v9 offset:1440
.LBB0_24:
	s_or_b64 exec, exec, s[2:3]
	s_movk_i32 s2, 0xab
	v_mul_lo_u16_sdwa v7, v3, s2 dst_sel:DWORD dst_unused:UNUSED_PAD src0_sel:BYTE_0 src1_sel:DWORD
	v_lshrrev_b16_e32 v7, 10, v7
	v_mul_lo_u16_e32 v8, 6, v7
	v_sub_u16_e32 v8, v3, v8
	v_mov_b32_e32 v13, 12
	v_mul_u32_u24_sdwa v13, v8, v13 dst_sel:DWORD dst_unused:UNUSED_PAD src0_sel:BYTE_0 src1_sel:DWORD
	v_lshlrev_b32_e32 v13, 2, v13
	global_load_dwordx4 v[42:45], v13, s[12:13] offset:16
	global_load_dwordx4 v[46:49], v13, s[12:13] offset:32
	;; [unrolled: 1-line block ×3, first 2 shown]
	s_waitcnt vmcnt(0) lgkmcnt(0)
	s_barrier
	v_mul_f16_sdwa v13, v14, v42 dst_sel:DWORD dst_unused:UNUSED_PAD src0_sel:DWORD src1_sel:WORD_1
	v_mul_f16_sdwa v34, v20, v42 dst_sel:DWORD dst_unused:UNUSED_PAD src0_sel:DWORD src1_sel:WORD_1
	;; [unrolled: 1-line block ×24, first 2 shown]
	v_fma_f16 v41, v20, v42, -v13
	v_fma_f16 v42, v14, v42, v34
	v_fma_f16 v34, v21, v43, -v37
	v_fma_f16 v37, v25, v43, v39
	;; [unrolled: 2-line block ×12, first 2 shown]
	s_and_saveexec_b64 s[2:3], s[0:1]
	s_cbranch_execz .LBB0_26
; %bb.25:
	v_sub_f16_e32 v29, v42, v44
	v_add_f16_e32 v24, v41, v43
	v_mul_f16_e32 v30, 0xb3a8, v29
	s_mov_b32 s6, 0xbbc4
	v_sub_f16_e32 v33, v37, v40
	v_fma_f16 v31, v24, s6, v30
	v_add_f16_e32 v32, v34, v39
	v_mul_f16_e32 v35, 0x3770, v33
	s_movk_i32 s7, 0x3b15
	v_add_f16_e32 v31, v11, v31
	v_fma_f16 v36, v32, s7, v35
	v_sub_f16_e32 v38, v26, v28
	v_add_f16_e32 v31, v36, v31
	v_add_f16_e32 v36, v25, v27
	v_mul_f16_e32 v45, 0xb94e, v38
	s_mov_b32 s8, 0xb9fd
	v_fma_f16 v46, v36, s8, v45
	v_sub_f16_e32 v47, v21, v23
	v_add_f16_e32 v31, v46, v31
	v_add_f16_e32 v46, v20, v22
	v_mul_f16_e32 v48, 0x3a95, v47
	s_movk_i32 s9, 0x388b
	v_fma_f16 v30, v24, s6, -v30
	v_fma_f16 v49, v46, s9, v48
	v_sub_f16_e32 v50, v17, v19
	v_add_f16_e32 v30, v11, v30
	v_fma_f16 v35, v32, s7, -v35
	v_add_f16_e32 v31, v49, v31
	v_add_f16_e32 v49, v16, v18
	v_mul_f16_e32 v51, 0xbb7b, v50
	s_mov_b32 s14, 0xb5ac
	v_add_f16_e32 v30, v35, v30
	v_fma_f16 v35, v36, s8, -v45
	v_fma_f16 v52, v49, s14, v51
	v_sub_f16_e32 v53, v13, v15
	v_add_f16_e32 v30, v35, v30
	v_fma_f16 v35, v46, s9, -v48
	v_add_f16_e32 v31, v52, v31
	v_add_f16_e32 v52, v12, v14
	v_mul_f16_e32 v54, 0x3bf1, v53
	s_movk_i32 s15, 0x2fb7
	v_add_f16_e32 v30, v35, v30
	v_fma_f16 v35, v49, s14, -v51
	v_add_f16_e32 v30, v35, v30
	v_fma_f16 v35, v52, s15, -v54
	v_add_f16_e32 v30, v35, v30
	v_mul_f16_e32 v35, 0xb94e, v29
	v_fma_f16 v45, v24, s8, v35
	v_mul_f16_e32 v48, 0x3bf1, v33
	v_add_f16_e32 v45, v11, v45
	v_fma_f16 v51, v32, s15, v48
	v_add_f16_e32 v45, v51, v45
	v_mul_f16_e32 v51, 0xba95, v38
	v_fma_f16 v55, v52, s15, v54
	v_fma_f16 v54, v36, s9, v51
	v_add_f16_e32 v45, v54, v45
	v_mul_f16_e32 v54, 0x33a8, v47
	v_fma_f16 v35, v24, s8, -v35
	v_add_f16_e32 v31, v55, v31
	v_fma_f16 v55, v46, s6, v54
	v_add_f16_e32 v35, v11, v35
	v_fma_f16 v48, v32, s15, -v48
	v_add_f16_e32 v45, v55, v45
	v_mul_f16_e32 v55, 0x3770, v50
	v_add_f16_e32 v35, v48, v35
	v_fma_f16 v48, v36, s9, -v51
	v_fma_f16 v56, v49, s7, v55
	v_add_f16_e32 v35, v48, v35
	v_fma_f16 v48, v46, s6, -v54
	v_add_f16_e32 v45, v56, v45
	v_mul_f16_e32 v56, 0xbb7b, v53
	v_add_f16_e32 v35, v48, v35
	v_fma_f16 v48, v49, s7, -v55
	v_add_f16_e32 v35, v48, v35
	v_fma_f16 v48, v52, s14, -v56
	v_add_f16_e32 v35, v48, v35
	v_mul_f16_e32 v48, 0xbb7b, v29
	v_fma_f16 v51, v24, s14, v48
	v_mul_f16_e32 v54, 0x394e, v33
	v_add_f16_e32 v51, v11, v51
	v_fma_f16 v55, v32, s8, v54
	v_add_f16_e32 v51, v55, v51
	v_mul_f16_e32 v55, 0x3770, v38
	v_fma_f16 v57, v52, s14, v56
	v_fma_f16 v56, v36, s7, v55
	v_add_f16_e32 v51, v56, v51
	v_mul_f16_e32 v56, 0xbbf1, v47
	v_fma_f16 v48, v24, s14, -v48
	v_add_f16_e32 v45, v57, v45
	v_fma_f16 v57, v46, s15, v56
	v_add_f16_e32 v48, v11, v48
	v_fma_f16 v54, v32, s8, -v54
	v_add_f16_e32 v51, v57, v51
	v_mul_f16_e32 v57, 0x33a8, v50
	v_add_f16_e32 v48, v54, v48
	v_fma_f16 v54, v36, s7, -v55
	v_fma_f16 v58, v49, s6, v57
	v_add_f16_e32 v48, v54, v48
	v_fma_f16 v54, v46, s15, -v56
	v_add_f16_e32 v51, v58, v51
	v_mul_f16_e32 v58, 0x3a95, v53
	;; [unrolled: 30-line block ×3, first 2 shown]
	v_add_f16_e32 v54, v56, v54
	v_fma_f16 v56, v49, s9, -v59
	v_add_f16_e32 v54, v56, v54
	v_fma_f16 v56, v52, s8, -v60
	v_add_f16_e32 v54, v56, v54
	v_mul_f16_e32 v56, 0xba95, v29
	v_fma_f16 v57, v24, s9, v56
	v_mul_f16_e32 v58, 0xbb7b, v33
	v_add_f16_e32 v57, v11, v57
	v_fma_f16 v59, v32, s14, v58
	v_add_f16_e32 v57, v59, v57
	v_mul_f16_e32 v59, 0xb3a8, v38
	v_fma_f16 v56, v24, s9, -v56
	v_fma_f16 v61, v52, s8, v60
	v_fma_f16 v60, v36, s6, v59
	v_add_f16_e32 v56, v11, v56
	v_fma_f16 v58, v32, s14, -v58
	v_add_f16_e32 v57, v60, v57
	v_mul_f16_e32 v60, 0x394e, v47
	v_add_f16_e32 v56, v58, v56
	v_fma_f16 v58, v36, s6, -v59
	v_add_f16_e32 v55, v61, v55
	v_fma_f16 v61, v46, s8, v60
	v_add_f16_e32 v56, v58, v56
	v_fma_f16 v58, v46, s8, -v60
	v_add_f16_e32 v57, v61, v57
	v_mul_f16_e32 v61, 0x3bf1, v50
	v_add_f16_e32 v56, v58, v56
	v_add_f16_e32 v58, v11, v41
	v_fma_f16 v62, v49, s15, v61
	v_add_f16_e32 v58, v58, v34
	v_add_f16_e32 v57, v62, v57
	v_mul_f16_e32 v62, 0x3770, v53
	v_add_f16_e32 v58, v58, v25
	v_fma_f16 v59, v49, s15, -v61
	v_add_f16_e32 v58, v58, v20
	v_add_f16_e32 v56, v59, v56
	v_fma_f16 v59, v52, s7, -v62
	v_mul_f16_e32 v29, 0xb770, v29
	v_add_f16_e32 v58, v58, v16
	v_add_f16_e32 v56, v59, v56
	v_fma_f16 v59, v24, s7, v29
	v_mul_f16_e32 v33, 0xba95, v33
	v_fma_f16 v24, v24, s7, -v29
	v_add_f16_e32 v58, v58, v12
	v_add_f16_e32 v59, v11, v59
	v_fma_f16 v60, v32, s9, v33
	v_mul_f16_e32 v38, 0xbbf1, v38
	v_add_f16_e32 v11, v11, v24
	v_fma_f16 v24, v32, s9, -v33
	v_add_f16_e32 v58, v58, v14
	v_add_f16_e32 v59, v60, v59
	v_fma_f16 v60, v36, s15, v38
	v_mul_f16_e32 v47, 0xbb7b, v47
	v_add_f16_e32 v11, v24, v11
	;; [unrolled: 6-line block ×4, first 2 shown]
	v_fma_f16 v24, v49, s8, -v50
	v_add_f16_e32 v58, v58, v27
	v_add_f16_e32 v59, v60, v59
	v_fma_f16 v60, v52, s6, v53
	v_add_f16_e32 v11, v24, v11
	v_fma_f16 v24, v52, s6, -v53
	s_movk_i32 s6, 0x9c
	v_mov_b32_e32 v29, 1
	v_add_f16_e32 v58, v58, v39
	v_add_f16_e32 v11, v24, v11
	v_mad_u32_u24 v24, v7, s6, 0
	v_lshlrev_b32_sdwa v29, v29, v8 dst_sel:DWORD dst_unused:UNUSED_PAD src0_sel:DWORD src1_sel:BYTE_0
	v_fma_f16 v63, v52, s7, v62
	v_add_f16_e32 v58, v58, v43
	v_add3_u32 v24, v24, v29, v4
	v_add_f16_e32 v57, v63, v57
	v_add_f16_e32 v59, v60, v59
	ds_write_b16 v24, v58
	ds_write_b16 v24, v11 offset:12
	ds_write_b16 v24, v56 offset:24
	;; [unrolled: 1-line block ×12, first 2 shown]
.LBB0_26:
	s_or_b64 exec, exec, s[2:3]
	s_waitcnt lgkmcnt(0)
	s_barrier
	ds_read_u16 v24, v0
	ds_read_u16 v29, v9 offset:1092
	ds_read_u16 v33, v9 offset:936
	;; [unrolled: 1-line block ×9, first 2 shown]
	s_waitcnt lgkmcnt(0)
	s_barrier
	s_and_saveexec_b64 s[2:3], s[0:1]
	s_cbranch_execz .LBB0_28
; %bb.27:
	v_add_f16_e32 v45, v10, v42
	v_add_f16_e32 v45, v45, v37
	;; [unrolled: 1-line block ×10, first 2 shown]
	v_sub_f16_e32 v41, v41, v43
	v_add_f16_e32 v45, v45, v40
	v_add_f16_e32 v42, v42, v44
	v_mul_f16_e32 v43, 0xb770, v41
	s_movk_i32 s0, 0x3b15
	v_mul_f16_e32 v46, 0xba95, v41
	s_movk_i32 s1, 0x388b
	v_mul_f16_e32 v48, 0xbbf1, v41
	s_movk_i32 s6, 0x2fb7
	v_mul_f16_e32 v50, 0xbb7b, v41
	s_mov_b32 s7, 0xb5ac
	v_mul_f16_e32 v52, 0xb94e, v41
	s_mov_b32 s8, 0xb9fd
	;; [unrolled: 2-line block ×3, first 2 shown]
	v_sub_f16_e32 v34, v34, v39
	v_add_f16_e32 v45, v45, v44
	v_fma_f16 v44, v42, s0, v43
	v_fma_f16 v43, v42, s0, -v43
	v_fma_f16 v47, v42, s1, v46
	v_fma_f16 v46, v42, s1, -v46
	;; [unrolled: 2-line block ×6, first 2 shown]
	v_add_f16_e32 v37, v37, v40
	v_mul_f16_e32 v39, 0xba95, v34
	v_add_f16_e32 v44, v10, v44
	v_add_f16_e32 v43, v10, v43
	;; [unrolled: 1-line block ×12, first 2 shown]
	v_fma_f16 v40, v37, s1, v39
	v_fma_f16 v39, v37, s1, -v39
	v_mul_f16_e32 v41, 0xbb7b, v34
	v_add_f16_e32 v39, v39, v43
	v_fma_f16 v42, v37, s7, v41
	v_fma_f16 v41, v37, s7, -v41
	v_mul_f16_e32 v43, 0xb3a8, v34
	v_add_f16_e32 v40, v40, v44
	v_add_f16_e32 v41, v41, v46
	v_fma_f16 v44, v37, s9, v43
	v_fma_f16 v43, v37, s9, -v43
	v_mul_f16_e32 v46, 0x394e, v34
	v_add_f16_e32 v42, v42, v47
	v_add_f16_e32 v43, v43, v48
	v_fma_f16 v47, v37, s8, v46
	v_fma_f16 v46, v37, s8, -v46
	v_mul_f16_e32 v48, 0x3bf1, v34
	v_mul_f16_e32 v34, 0x3770, v34
	v_sub_f16_e32 v25, v25, v27
	v_add_f16_e32 v46, v46, v50
	v_fma_f16 v50, v37, s0, v34
	v_fma_f16 v34, v37, s0, -v34
	v_add_f16_e32 v26, v26, v28
	v_mul_f16_e32 v27, 0xbbf1, v25
	v_add_f16_e32 v10, v34, v10
	v_fma_f16 v28, v26, s6, v27
	v_fma_f16 v27, v26, s6, -v27
	v_mul_f16_e32 v34, 0xb3a8, v25
	v_add_f16_e32 v44, v44, v49
	v_fma_f16 v49, v37, s6, v48
	v_fma_f16 v48, v37, s6, -v48
	v_add_f16_e32 v27, v27, v39
	v_fma_f16 v37, v26, s9, v34
	v_fma_f16 v34, v26, s9, -v34
	v_mul_f16_e32 v39, 0x3b7b, v25
	v_add_f16_e32 v28, v28, v40
	v_add_f16_e32 v34, v34, v41
	v_fma_f16 v40, v26, s7, v39
	v_fma_f16 v39, v26, s7, -v39
	v_mul_f16_e32 v41, 0x3770, v25
	v_add_f16_e32 v37, v37, v42
	v_add_f16_e32 v39, v39, v43
	v_fma_f16 v42, v26, s0, v41
	v_fma_f16 v41, v26, s0, -v41
	v_mul_f16_e32 v43, 0xba95, v25
	v_mul_f16_e32 v25, 0xb94e, v25
	v_sub_f16_e32 v20, v20, v22
	v_add_f16_e32 v41, v41, v46
	v_fma_f16 v46, v26, s8, v25
	v_fma_f16 v25, v26, s8, -v25
	v_add_f16_e32 v21, v21, v23
	v_mul_f16_e32 v22, 0xbb7b, v20
	v_add_f16_e32 v10, v25, v10
	v_fma_f16 v23, v21, s7, v22
	v_fma_f16 v22, v21, s7, -v22
	v_mul_f16_e32 v25, 0x394e, v20
	v_add_f16_e32 v40, v40, v44
	v_fma_f16 v44, v26, s1, v43
	v_fma_f16 v43, v26, s1, -v43
	;; [unrolled: 28-line block ×4, first 2 shown]
	v_add_f16_e32 v14, v14, v18
	v_fma_f16 v17, v13, s0, v16
	v_fma_f16 v16, v13, s0, -v16
	v_mul_f16_e32 v18, 0xb94e, v12
	v_add_f16_e32 v15, v15, v19
	v_add_f16_e32 v16, v16, v20
	v_fma_f16 v19, v13, s8, v18
	v_fma_f16 v18, v13, s8, -v18
	v_mul_f16_e32 v20, 0x3a95, v12
	v_add_f16_e32 v17, v17, v21
	v_add_f16_e32 v18, v18, v22
	v_fma_f16 v21, v13, s1, v20
	v_fma_f16 v20, v13, s1, -v20
	v_mul_f16_e32 v22, 0xbb7b, v12
	v_mul_f16_e32 v12, 0x3bf1, v12
	v_add_f16_e32 v47, v47, v51
	v_add_f16_e32 v49, v49, v53
	;; [unrolled: 1-line block ×5, first 2 shown]
	v_fma_f16 v25, v13, s6, v12
	v_fma_f16 v12, v13, s6, -v12
	v_add_f16_e32 v42, v42, v47
	v_add_f16_e32 v44, v44, v49
	;; [unrolled: 1-line block ×5, first 2 shown]
	s_movk_i32 s0, 0x9c
	v_mov_b32_e32 v12, 1
	v_add_f16_e32 v37, v37, v42
	v_add_f16_e32 v40, v40, v44
	;; [unrolled: 1-line block ×4, first 2 shown]
	v_mad_u32_u24 v7, v7, s0, 0
	v_lshlrev_b32_sdwa v8, v12, v8 dst_sel:DWORD dst_unused:UNUSED_PAD src0_sel:DWORD src1_sel:BYTE_0
	v_add_f16_e32 v26, v26, v37
	v_add_f16_e32 v28, v28, v40
	;; [unrolled: 1-line block ×5, first 2 shown]
	v_fma_f16 v23, v13, s7, v22
	v_fma_f16 v22, v13, s7, -v22
	v_add3_u32 v4, v7, v8, v4
	v_add_f16_e32 v21, v21, v26
	v_add_f16_e32 v23, v23, v28
	;; [unrolled: 1-line block ×4, first 2 shown]
	ds_write_b16 v4, v45
	ds_write_b16 v4, v15 offset:12
	ds_write_b16 v4, v17 offset:24
	;; [unrolled: 1-line block ×12, first 2 shown]
.LBB0_28:
	s_or_b64 exec, exec, s[2:3]
	v_lshlrev_b32_e32 v7, 2, v3
	v_mov_b32_e32 v8, 0
	v_lshlrev_b64 v[12:13], 2, v[7:8]
	v_mov_b32_e32 v4, s13
	v_add_co_u32_e64 v12, s[0:1], s12, v12
	v_addc_co_u32_e64 v13, s[0:1], v4, v13, s[0:1]
	s_waitcnt lgkmcnt(0)
	s_barrier
	global_load_dwordx4 v[12:15], v[12:13], off offset:304
	ds_read_u16 v4, v0
	ds_read_u16 v7, v9 offset:1092
	ds_read_u16 v10, v9 offset:936
	;; [unrolled: 1-line block ×9, first 2 shown]
	s_movk_i32 s0, 0x3b9c
	s_mov_b32 s3, 0xbb9c
	s_movk_i32 s1, 0x38b4
	s_mov_b32 s6, 0xb8b4
	s_movk_i32 s2, 0x34f2
	s_waitcnt vmcnt(0) lgkmcnt(0)
	s_barrier
	v_mul_f16_sdwa v25, v38, v12 dst_sel:DWORD dst_unused:UNUSED_PAD src0_sel:DWORD src1_sel:WORD_1
	v_mul_f16_sdwa v26, v17, v13 dst_sel:DWORD dst_unused:UNUSED_PAD src0_sel:DWORD src1_sel:WORD_1
	;; [unrolled: 1-line block ×12, first 2 shown]
	v_fma_f16 v19, v19, v12, v25
	v_fma_f16 v25, v35, v13, -v26
	v_fma_f16 v26, v33, v14, -v28
	v_mul_f16_sdwa v34, v33, v14 dst_sel:DWORD dst_unused:UNUSED_PAD src0_sel:DWORD src1_sel:WORD_1
	v_mul_f16_sdwa v45, v29, v14 dst_sel:DWORD dst_unused:UNUSED_PAD src0_sel:DWORD src1_sel:WORD_1
	v_fma_f16 v23, v38, v12, -v23
	v_fma_f16 v17, v17, v13, v27
	v_fma_f16 v27, v36, v15, -v37
	v_fma_f16 v21, v21, v15, v39
	;; [unrolled: 2-line block ×4, first 2 shown]
	v_fma_f16 v16, v29, v14, -v44
	v_add_f16_e32 v29, v25, v26
	v_mul_f16_sdwa v46, v22, v15 dst_sel:DWORD dst_unused:UNUSED_PAD src0_sel:DWORD src1_sel:WORD_1
	v_mul_f16_sdwa v47, v31, v15 dst_sel:DWORD dst_unused:UNUSED_PAD src0_sel:DWORD src1_sel:WORD_1
	v_fma_f16 v10, v10, v14, v34
	v_sub_f16_e32 v30, v19, v21
	v_sub_f16_e32 v32, v23, v25
	;; [unrolled: 1-line block ×3, first 2 shown]
	v_add_f16_e32 v34, v23, v27
	v_sub_f16_e32 v35, v25, v23
	v_sub_f16_e32 v36, v26, v27
	v_add_f16_e32 v37, v4, v19
	v_fma_f16 v29, v29, -0.5, v24
	v_fma_f16 v7, v7, v14, v45
	v_fma_f16 v14, v31, v15, -v46
	v_fma_f16 v15, v22, v15, v47
	v_add_f16_e32 v22, v24, v23
	v_sub_f16_e32 v31, v17, v10
	v_add_f16_e32 v32, v32, v33
	v_fma_f16 v24, v34, -0.5, v24
	v_add_f16_e32 v33, v35, v36
	v_add_f16_e32 v34, v37, v17
	v_fma_f16 v35, v30, s0, v29
	v_fma_f16 v29, v30, s3, v29
	;; [unrolled: 1-line block ×4, first 2 shown]
	v_add_f16_e32 v34, v34, v10
	v_fma_f16 v35, v31, s1, v35
	v_fma_f16 v29, v31, s6, v29
	v_add_f16_e32 v22, v22, v25
	v_fma_f16 v31, v30, s1, v36
	v_fma_f16 v24, v30, s6, v24
	;; [unrolled: 3-line block ×3, first 2 shown]
	v_add_f16_e32 v32, v17, v10
	v_add_f16_e32 v22, v22, v26
	v_fma_f16 v32, v32, -0.5, v4
	v_sub_f16_e32 v23, v23, v27
	v_add_f16_e32 v22, v22, v27
	v_fma_f16 v27, v23, s3, v32
	v_sub_f16_e32 v25, v25, v26
	v_fma_f16 v31, v33, s2, v31
	v_fma_f16 v24, v33, s2, v24
	;; [unrolled: 1-line block ×3, first 2 shown]
	v_sub_f16_e32 v27, v19, v17
	v_sub_f16_e32 v33, v21, v10
	v_fma_f16 v32, v23, s0, v32
	v_add_f16_e32 v27, v27, v33
	v_fma_f16 v32, v25, s1, v32
	v_fma_f16 v26, v27, s2, v26
	;; [unrolled: 1-line block ×3, first 2 shown]
	v_add_f16_e32 v32, v19, v21
	v_fma_f16 v4, v32, -0.5, v4
	v_sub_f16_e32 v17, v17, v19
	v_sub_f16_e32 v10, v10, v21
	v_fma_f16 v32, v25, s0, v4
	v_add_f16_e32 v10, v17, v10
	v_add_f16_e32 v17, v18, v16
	v_fma_f16 v32, v23, s6, v32
	v_fma_f16 v4, v25, s3, v4
	v_fma_f16 v17, v17, -0.5, v11
	v_sub_f16_e32 v21, v12, v15
	v_fma_f16 v19, v10, s2, v32
	v_fma_f16 v4, v23, s1, v4
	;; [unrolled: 1-line block ×3, first 2 shown]
	v_sub_f16_e32 v25, v13, v7
	v_sub_f16_e32 v32, v28, v18
	;; [unrolled: 1-line block ×3, first 2 shown]
	v_fma_f16 v17, v21, s3, v17
	v_fma_f16 v23, v25, s1, v23
	v_add_f16_e32 v32, v32, v33
	v_fma_f16 v17, v25, s6, v17
	v_fma_f16 v4, v10, s2, v4
	v_add_f16_e32 v10, v11, v28
	;; [unrolled: 3-line block ×3, first 2 shown]
	v_add_f16_e32 v10, v10, v18
	v_fma_f16 v11, v32, -0.5, v11
	v_add_f16_e32 v10, v10, v16
	v_fma_f16 v32, v25, s3, v11
	v_fma_f16 v11, v25, s0, v11
	v_add_f16_e32 v25, v13, v7
	v_add_f16_e32 v10, v10, v14
	v_sub_f16_e32 v33, v18, v28
	v_sub_f16_e32 v35, v16, v14
	v_fma_f16 v25, v25, -0.5, v20
	v_sub_f16_e32 v14, v28, v14
	v_fma_f16 v32, v21, s1, v32
	v_add_f16_e32 v33, v33, v35
	v_fma_f16 v11, v21, s6, v11
	v_fma_f16 v28, v14, s3, v25
	v_sub_f16_e32 v16, v18, v16
	v_fma_f16 v32, v33, s2, v32
	v_fma_f16 v11, v33, s2, v11
	;; [unrolled: 1-line block ×3, first 2 shown]
	v_sub_f16_e32 v28, v12, v13
	v_sub_f16_e32 v33, v15, v7
	v_add_f16_e32 v28, v28, v33
	v_fma_f16 v33, v28, s2, v18
	v_fma_f16 v18, v14, s0, v25
	v_add_f16_e32 v21, v20, v12
	v_fma_f16 v18, v16, s1, v18
	v_add_f16_e32 v21, v21, v13
	;; [unrolled: 2-line block ×3, first 2 shown]
	v_add_f16_e32 v21, v21, v7
	v_fma_f16 v18, v18, -0.5, v20
	v_sub_f16_e32 v12, v13, v12
	v_sub_f16_e32 v7, v7, v15
	v_fma_f16 v20, v16, s0, v18
	v_add_f16_e32 v7, v12, v7
	v_fma_f16 v12, v16, s3, v18
	v_fma_f16 v20, v14, s6, v20
	;; [unrolled: 1-line block ×3, first 2 shown]
	v_add_f16_e32 v21, v21, v15
	v_fma_f16 v20, v7, s2, v20
	v_fma_f16 v28, v7, s2, v12
	ds_write_b16 v9, v22
	ds_write_b16 v9, v34 offset:156
	ds_write_b16 v9, v31 offset:312
	;; [unrolled: 1-line block ×9, first 2 shown]
	s_waitcnt lgkmcnt(0)
	s_barrier
	ds_read_u16 v14, v9 offset:936
	ds_read_u16 v15, v9 offset:1092
	ds_read_u16 v7, v0
	ds_read_u16 v10, v9 offset:156
	ds_read_u16 v11, v9 offset:312
	;; [unrolled: 1-line block ×7, first 2 shown]
	s_waitcnt lgkmcnt(0)
	s_barrier
	ds_write_b16 v9, v30
	ds_write_b16 v9, v26 offset:156
	ds_write_b16 v9, v19 offset:312
	ds_write_b16 v9, v4 offset:468
	ds_write_b16 v9, v27 offset:624
	ds_write_b16 v9, v21 offset:780
	ds_write_b16 v9, v33 offset:936
	ds_write_b16 v9, v20 offset:1092
	ds_write_b16 v9, v28 offset:1248
	ds_write_b16 v9, v25 offset:1404
	s_waitcnt lgkmcnt(0)
	s_barrier
	s_and_saveexec_b64 s[0:1], vcc
	s_cbranch_execz .LBB0_30
; %bb.29:
	v_mov_b32_e32 v4, v8
	v_lshlrev_b64 v[19:20], 2, v[3:4]
	v_mov_b32_e32 v4, s13
	v_add_co_u32_e32 v19, vcc, s12, v19
	v_addc_co_u32_e32 v20, vcc, v4, v20, vcc
	global_load_dword v21, v[19:20], off offset:2800
	global_load_dword v22, v[19:20], off offset:2488
	;; [unrolled: 1-line block ×5, first 2 shown]
	v_mul_lo_u32 v19, s5, v5
	v_mul_lo_u32 v6, s4, v6
	v_mad_u64_u32 v[4:5], s[0:1], s4, v5, 0
	ds_read_u16 v20, v9 offset:1404
	ds_read_u16 v26, v9 offset:1248
	ds_read_u16 v27, v9 offset:1092
	ds_read_u16 v28, v9 offset:936
	ds_read_u16 v29, v9 offset:780
	ds_read_u16 v30, v9 offset:624
	ds_read_u16 v31, v9 offset:468
	ds_read_u16 v32, v9 offset:312
	ds_read_u16 v9, v9 offset:156
	ds_read_u16 v33, v0
	v_lshrrev_b32_e32 v0, 1, v3
	s_mov_b32 s0, 0xa80a80a9
	v_mul_hi_u32 v34, v0, s0
	v_add3_u32 v5, v5, v6, v19
	v_lshlrev_b64 v[4:5], 2, v[4:5]
	v_lshlrev_b64 v[0:1], 2, v[1:2]
	v_lshrrev_b32_e32 v2, 7, v34
	v_mov_b32_e32 v35, s11
	v_mul_u32_u24_e32 v2, 0x186, v2
	v_add_co_u32_e32 v4, vcc, s10, v4
	v_sub_u32_e32 v2, v3, v2
	v_addc_co_u32_e32 v5, vcc, v35, v5, vcc
	v_add_co_u32_e32 v4, vcc, v4, v0
	v_lshlrev_b32_e32 v0, 2, v2
	v_addc_co_u32_e32 v5, vcc, v5, v1, vcc
	v_add_co_u32_e32 v0, vcc, v4, v0
	s_movk_i32 s1, 0x30c
	s_waitcnt vmcnt(4)
	v_mul_f16_sdwa v2, v18, v21 dst_sel:DWORD dst_unused:UNUSED_PAD src0_sel:DWORD src1_sel:WORD_1
	s_waitcnt lgkmcnt(9)
	v_mul_f16_sdwa v1, v20, v21 dst_sel:DWORD dst_unused:UNUSED_PAD src0_sel:DWORD src1_sel:WORD_1
	v_fma_f16 v2, v21, v20, v2
	s_waitcnt vmcnt(3) lgkmcnt(8)
	v_mul_f16_sdwa v6, v26, v22 dst_sel:DWORD dst_unused:UNUSED_PAD src0_sel:DWORD src1_sel:WORD_1
	s_waitcnt vmcnt(0) lgkmcnt(5)
	v_mul_f16_sdwa v38, v29, v25 dst_sel:DWORD dst_unused:UNUSED_PAD src0_sel:DWORD src1_sel:WORD_1
	v_mul_f16_sdwa v39, v16, v25 dst_sel:DWORD dst_unused:UNUSED_PAD src0_sel:DWORD src1_sel:WORD_1
	v_fma_f16 v16, v16, v25, -v38
	v_fma_f16 v20, v25, v29, v39
	v_sub_f16_e32 v16, v7, v16
	s_waitcnt lgkmcnt(0)
	v_sub_f16_e32 v20, v33, v20
	v_fma_f16 v7, v7, 2.0, -v16
	v_fma_f16 v25, v33, 2.0, -v20
	v_mul_f16_sdwa v19, v17, v22 dst_sel:DWORD dst_unused:UNUSED_PAD src0_sel:DWORD src1_sel:WORD_1
	v_pack_b32_f16 v7, v7, v25
	v_add_u32_e32 v25, 0x4e, v3
	v_fma_f16 v6, v17, v22, -v6
	v_fma_f16 v17, v22, v26, v19
	v_lshrrev_b32_e32 v26, 1, v25
	v_mul_hi_u32 v26, v26, s0
	v_fma_f16 v1, v18, v21, -v1
	v_sub_f16_e32 v21, v13, v1
	v_addc_co_u32_e32 v1, vcc, 0, v5, vcc
	global_store_dword v[0:1], v7, off
	v_pack_b32_f16 v7, v16, v20
	global_store_dword v[0:1], v7, off offset:1560
	v_lshrrev_b32_e32 v0, 7, v26
	v_mul_u32_u24_e32 v1, 0x186, v0
	v_sub_u32_e32 v1, v25, v1
	v_mul_f16_sdwa v36, v28, v24 dst_sel:DWORD dst_unused:UNUSED_PAD src0_sel:DWORD src1_sel:WORD_1
	v_mul_f16_sdwa v37, v14, v24 dst_sel:DWORD dst_unused:UNUSED_PAD src0_sel:DWORD src1_sel:WORD_1
	v_mad_u32_u24 v7, v0, s1, v1
	v_fma_f16 v14, v14, v24, -v36
	v_fma_f16 v19, v24, v28, v37
	v_lshlrev_b64 v[0:1], 2, v[7:8]
	v_sub_f16_e32 v14, v10, v14
	v_sub_f16_e32 v19, v9, v19
	v_fma_f16 v10, v10, 2.0, -v14
	v_fma_f16 v9, v9, 2.0, -v19
	v_add_co_u32_e32 v0, vcc, v4, v0
	v_addc_co_u32_e32 v1, vcc, v5, v1, vcc
	v_pack_b32_f16 v9, v10, v9
	v_add_u32_e32 v7, 0x186, v7
	global_store_dword v[0:1], v9, off
	v_lshlrev_b64 v[0:1], 2, v[7:8]
	v_add_u32_e32 v7, 0x9c, v3
	v_lshrrev_b32_e32 v9, 1, v7
	v_mul_hi_u32 v9, v9, s0
	v_add_co_u32_e32 v0, vcc, v4, v0
	v_addc_co_u32_e32 v1, vcc, v5, v1, vcc
	v_pack_b32_f16 v10, v14, v19
	global_store_dword v[0:1], v10, off
	v_lshrrev_b32_e32 v0, 7, v9
	v_mul_u32_u24_e32 v1, 0x186, v0
	v_sub_u32_e32 v1, v7, v1
	v_mul_f16_sdwa v34, v27, v23 dst_sel:DWORD dst_unused:UNUSED_PAD src0_sel:DWORD src1_sel:WORD_1
	v_mul_f16_sdwa v35, v15, v23 dst_sel:DWORD dst_unused:UNUSED_PAD src0_sel:DWORD src1_sel:WORD_1
	v_mad_u32_u24 v7, v0, s1, v1
	v_fma_f16 v15, v15, v23, -v34
	v_fma_f16 v18, v23, v27, v35
	v_lshlrev_b64 v[0:1], 2, v[7:8]
	v_sub_f16_e32 v15, v11, v15
	v_sub_f16_e32 v18, v32, v18
	v_fma_f16 v11, v11, 2.0, -v15
	v_fma_f16 v24, v32, 2.0, -v18
	v_add_co_u32_e32 v0, vcc, v4, v0
	v_addc_co_u32_e32 v1, vcc, v5, v1, vcc
	v_pack_b32_f16 v9, v11, v24
	v_add_u32_e32 v7, 0x186, v7
	global_store_dword v[0:1], v9, off
	v_lshlrev_b64 v[0:1], 2, v[7:8]
	v_add_u32_e32 v7, 0xea, v3
	v_lshrrev_b32_e32 v9, 1, v7
	v_mul_hi_u32 v9, v9, s0
	v_add_co_u32_e32 v0, vcc, v4, v0
	v_addc_co_u32_e32 v1, vcc, v5, v1, vcc
	v_pack_b32_f16 v10, v15, v18
	global_store_dword v[0:1], v10, off
	v_lshrrev_b32_e32 v0, 7, v9
	v_mul_u32_u24_e32 v1, 0x186, v0
	v_sub_u32_e32 v1, v7, v1
	v_mad_u32_u24 v7, v0, s1, v1
	v_lshlrev_b64 v[0:1], 2, v[7:8]
	v_sub_f16_e32 v6, v12, v6
	v_sub_f16_e32 v17, v31, v17
	v_fma_f16 v12, v12, 2.0, -v6
	v_fma_f16 v23, v31, 2.0, -v17
	v_add_co_u32_e32 v0, vcc, v4, v0
	v_addc_co_u32_e32 v1, vcc, v5, v1, vcc
	v_pack_b32_f16 v9, v12, v23
	v_add_u32_e32 v7, 0x186, v7
	v_add_u32_e32 v3, 0x138, v3
	global_store_dword v[0:1], v9, off
	v_lshlrev_b64 v[0:1], 2, v[7:8]
	v_lshrrev_b32_e32 v7, 1, v3
	v_mul_hi_u32 v7, v7, s0
	v_add_co_u32_e32 v0, vcc, v4, v0
	v_addc_co_u32_e32 v1, vcc, v5, v1, vcc
	v_pack_b32_f16 v6, v6, v17
	global_store_dword v[0:1], v6, off
	v_lshrrev_b32_e32 v0, 7, v7
	v_mul_u32_u24_e32 v1, 0x186, v0
	v_sub_u32_e32 v1, v3, v1
	v_mad_u32_u24 v7, v0, s1, v1
	v_lshlrev_b64 v[0:1], 2, v[7:8]
	v_sub_f16_e32 v2, v30, v2
	v_fma_f16 v13, v13, 2.0, -v21
	v_fma_f16 v22, v30, 2.0, -v2
	v_add_co_u32_e32 v0, vcc, v4, v0
	v_addc_co_u32_e32 v1, vcc, v5, v1, vcc
	v_pack_b32_f16 v3, v13, v22
	v_add_u32_e32 v7, 0x186, v7
	global_store_dword v[0:1], v3, off
	v_lshlrev_b64 v[0:1], 2, v[7:8]
	v_pack_b32_f16 v2, v21, v2
	v_add_co_u32_e32 v0, vcc, v4, v0
	v_addc_co_u32_e32 v1, vcc, v5, v1, vcc
	global_store_dword v[0:1], v2, off
.LBB0_30:
	s_endpgm
	.section	.rodata,"a",@progbits
	.p2align	6, 0x0
	.amdhsa_kernel fft_rtc_fwd_len780_factors_2_3_13_5_2_wgs_234_tpt_78_halfLds_half_op_CI_CI_unitstride_sbrr_dirReg
		.amdhsa_group_segment_fixed_size 0
		.amdhsa_private_segment_fixed_size 0
		.amdhsa_kernarg_size 104
		.amdhsa_user_sgpr_count 6
		.amdhsa_user_sgpr_private_segment_buffer 1
		.amdhsa_user_sgpr_dispatch_ptr 0
		.amdhsa_user_sgpr_queue_ptr 0
		.amdhsa_user_sgpr_kernarg_segment_ptr 1
		.amdhsa_user_sgpr_dispatch_id 0
		.amdhsa_user_sgpr_flat_scratch_init 0
		.amdhsa_user_sgpr_private_segment_size 0
		.amdhsa_uses_dynamic_stack 0
		.amdhsa_system_sgpr_private_segment_wavefront_offset 0
		.amdhsa_system_sgpr_workgroup_id_x 1
		.amdhsa_system_sgpr_workgroup_id_y 0
		.amdhsa_system_sgpr_workgroup_id_z 0
		.amdhsa_system_sgpr_workgroup_info 0
		.amdhsa_system_vgpr_workitem_id 0
		.amdhsa_next_free_vgpr 73
		.amdhsa_next_free_sgpr 28
		.amdhsa_reserve_vcc 1
		.amdhsa_reserve_flat_scratch 0
		.amdhsa_float_round_mode_32 0
		.amdhsa_float_round_mode_16_64 0
		.amdhsa_float_denorm_mode_32 3
		.amdhsa_float_denorm_mode_16_64 3
		.amdhsa_dx10_clamp 1
		.amdhsa_ieee_mode 1
		.amdhsa_fp16_overflow 0
		.amdhsa_exception_fp_ieee_invalid_op 0
		.amdhsa_exception_fp_denorm_src 0
		.amdhsa_exception_fp_ieee_div_zero 0
		.amdhsa_exception_fp_ieee_overflow 0
		.amdhsa_exception_fp_ieee_underflow 0
		.amdhsa_exception_fp_ieee_inexact 0
		.amdhsa_exception_int_div_zero 0
	.end_amdhsa_kernel
	.text
.Lfunc_end0:
	.size	fft_rtc_fwd_len780_factors_2_3_13_5_2_wgs_234_tpt_78_halfLds_half_op_CI_CI_unitstride_sbrr_dirReg, .Lfunc_end0-fft_rtc_fwd_len780_factors_2_3_13_5_2_wgs_234_tpt_78_halfLds_half_op_CI_CI_unitstride_sbrr_dirReg
                                        ; -- End function
	.section	.AMDGPU.csdata,"",@progbits
; Kernel info:
; codeLenInByte = 9244
; NumSgprs: 32
; NumVgprs: 73
; ScratchSize: 0
; MemoryBound: 0
; FloatMode: 240
; IeeeMode: 1
; LDSByteSize: 0 bytes/workgroup (compile time only)
; SGPRBlocks: 3
; VGPRBlocks: 18
; NumSGPRsForWavesPerEU: 32
; NumVGPRsForWavesPerEU: 73
; Occupancy: 3
; WaveLimiterHint : 1
; COMPUTE_PGM_RSRC2:SCRATCH_EN: 0
; COMPUTE_PGM_RSRC2:USER_SGPR: 6
; COMPUTE_PGM_RSRC2:TRAP_HANDLER: 0
; COMPUTE_PGM_RSRC2:TGID_X_EN: 1
; COMPUTE_PGM_RSRC2:TGID_Y_EN: 0
; COMPUTE_PGM_RSRC2:TGID_Z_EN: 0
; COMPUTE_PGM_RSRC2:TIDIG_COMP_CNT: 0
	.type	__hip_cuid_e2b581c538ea980d,@object ; @__hip_cuid_e2b581c538ea980d
	.section	.bss,"aw",@nobits
	.globl	__hip_cuid_e2b581c538ea980d
__hip_cuid_e2b581c538ea980d:
	.byte	0                               ; 0x0
	.size	__hip_cuid_e2b581c538ea980d, 1

	.ident	"AMD clang version 19.0.0git (https://github.com/RadeonOpenCompute/llvm-project roc-6.4.0 25133 c7fe45cf4b819c5991fe208aaa96edf142730f1d)"
	.section	".note.GNU-stack","",@progbits
	.addrsig
	.addrsig_sym __hip_cuid_e2b581c538ea980d
	.amdgpu_metadata
---
amdhsa.kernels:
  - .args:
      - .actual_access:  read_only
        .address_space:  global
        .offset:         0
        .size:           8
        .value_kind:     global_buffer
      - .offset:         8
        .size:           8
        .value_kind:     by_value
      - .actual_access:  read_only
        .address_space:  global
        .offset:         16
        .size:           8
        .value_kind:     global_buffer
      - .actual_access:  read_only
        .address_space:  global
        .offset:         24
        .size:           8
        .value_kind:     global_buffer
      - .actual_access:  read_only
        .address_space:  global
        .offset:         32
        .size:           8
        .value_kind:     global_buffer
      - .offset:         40
        .size:           8
        .value_kind:     by_value
      - .actual_access:  read_only
        .address_space:  global
        .offset:         48
        .size:           8
        .value_kind:     global_buffer
      - .actual_access:  read_only
        .address_space:  global
        .offset:         56
        .size:           8
        .value_kind:     global_buffer
      - .offset:         64
        .size:           4
        .value_kind:     by_value
      - .actual_access:  read_only
        .address_space:  global
        .offset:         72
        .size:           8
        .value_kind:     global_buffer
      - .actual_access:  read_only
        .address_space:  global
        .offset:         80
        .size:           8
        .value_kind:     global_buffer
      - .actual_access:  read_only
        .address_space:  global
        .offset:         88
        .size:           8
        .value_kind:     global_buffer
      - .actual_access:  write_only
        .address_space:  global
        .offset:         96
        .size:           8
        .value_kind:     global_buffer
    .group_segment_fixed_size: 0
    .kernarg_segment_align: 8
    .kernarg_segment_size: 104
    .language:       OpenCL C
    .language_version:
      - 2
      - 0
    .max_flat_workgroup_size: 234
    .name:           fft_rtc_fwd_len780_factors_2_3_13_5_2_wgs_234_tpt_78_halfLds_half_op_CI_CI_unitstride_sbrr_dirReg
    .private_segment_fixed_size: 0
    .sgpr_count:     32
    .sgpr_spill_count: 0
    .symbol:         fft_rtc_fwd_len780_factors_2_3_13_5_2_wgs_234_tpt_78_halfLds_half_op_CI_CI_unitstride_sbrr_dirReg.kd
    .uniform_work_group_size: 1
    .uses_dynamic_stack: false
    .vgpr_count:     73
    .vgpr_spill_count: 0
    .wavefront_size: 64
amdhsa.target:   amdgcn-amd-amdhsa--gfx906
amdhsa.version:
  - 1
  - 2
...

	.end_amdgpu_metadata
